;; amdgpu-corpus repo=ROCm/rocFFT kind=compiled arch=gfx906 opt=O3
	.text
	.amdgcn_target "amdgcn-amd-amdhsa--gfx906"
	.amdhsa_code_object_version 6
	.protected	bluestein_single_back_len160_dim1_sp_op_CI_CI ; -- Begin function bluestein_single_back_len160_dim1_sp_op_CI_CI
	.globl	bluestein_single_back_len160_dim1_sp_op_CI_CI
	.p2align	8
	.type	bluestein_single_back_len160_dim1_sp_op_CI_CI,@function
bluestein_single_back_len160_dim1_sp_op_CI_CI: ; @bluestein_single_back_len160_dim1_sp_op_CI_CI
; %bb.0:
	s_load_dwordx4 s[0:3], s[4:5], 0x28
	v_lshrrev_b32_e32 v1, 4, v0
	v_lshl_or_b32 v48, s6, 4, v1
	v_mov_b32_e32 v49, 0
	s_waitcnt lgkmcnt(0)
	v_cmp_gt_u64_e32 vcc, s[0:1], v[48:49]
	s_and_saveexec_b64 s[0:1], vcc
	s_cbranch_execz .LBB0_15
; %bb.1:
	s_load_dwordx2 s[6:7], s[4:5], 0x0
	s_load_dwordx2 s[8:9], s[4:5], 0x38
	v_and_b32_e32 v54, 15, v0
	v_mul_u32_u24_e32 v55, 0xa0, v1
	v_cmp_gt_u32_e32 vcc, 10, v54
	v_lshlrev_b32_e32 v53, 3, v54
	v_or_b32_e32 v32, v55, v54
	v_add_lshl_u32 v0, v55, v54, 3
	s_and_saveexec_b64 s[10:11], vcc
	s_cbranch_execz .LBB0_3
; %bb.2:
	s_load_dwordx2 s[0:1], s[4:5], 0x18
	s_waitcnt lgkmcnt(0)
	s_load_dwordx4 s[12:15], s[0:1], 0x0
	s_waitcnt lgkmcnt(0)
	v_mad_u64_u32 v[1:2], s[0:1], s14, v48, 0
	v_mad_u64_u32 v[3:4], s[0:1], s12, v54, 0
	;; [unrolled: 1-line block ×4, first 2 shown]
	v_mov_b32_e32 v2, v5
	v_lshlrev_b64 v[1:2], 3, v[1:2]
	v_mov_b32_e32 v4, v6
	v_mov_b32_e32 v7, s3
	v_lshlrev_b64 v[3:4], 3, v[3:4]
	v_add_co_u32_e64 v1, s[0:1], s2, v1
	v_addc_co_u32_e64 v2, s[0:1], v7, v2, s[0:1]
	v_add_co_u32_e64 v1, s[0:1], v1, v3
	v_addc_co_u32_e64 v2, s[0:1], v2, v4, s[0:1]
	s_mul_i32 s0, s13, 0x50
	s_mul_hi_u32 s2, s12, 0x50
	s_add_i32 s2, s2, s0
	s_mul_i32 s3, s12, 0x50
	v_mov_b32_e32 v4, s2
	v_add_co_u32_e64 v3, s[0:1], s3, v1
	v_addc_co_u32_e64 v4, s[0:1], v2, v4, s[0:1]
	v_mov_b32_e32 v6, s2
	v_add_co_u32_e64 v5, s[0:1], s3, v3
	v_addc_co_u32_e64 v6, s[0:1], v4, v6, s[0:1]
	;; [unrolled: 3-line block ×3, first 2 shown]
	global_load_dwordx2 v[9:10], v[1:2], off
	global_load_dwordx2 v[11:12], v[3:4], off
	;; [unrolled: 1-line block ×4, first 2 shown]
	global_load_dwordx2 v[17:18], v53, s[6:7]
	global_load_dwordx2 v[19:20], v53, s[6:7] offset:80
	global_load_dwordx2 v[21:22], v53, s[6:7] offset:160
	;; [unrolled: 1-line block ×3, first 2 shown]
	v_mov_b32_e32 v2, s2
	v_add_co_u32_e64 v1, s[0:1], s3, v7
	v_addc_co_u32_e64 v2, s[0:1], v8, v2, s[0:1]
	global_load_dwordx2 v[3:4], v[1:2], off
	v_mov_b32_e32 v5, s2
	v_add_co_u32_e64 v1, s[0:1], s3, v1
	v_addc_co_u32_e64 v2, s[0:1], v2, v5, s[0:1]
	global_load_dwordx2 v[5:6], v[1:2], off
	;; [unrolled: 4-line block ×4, first 2 shown]
	global_load_dwordx2 v[27:28], v53, s[6:7] offset:320
	global_load_dwordx2 v[29:30], v53, s[6:7] offset:400
	global_load_dwordx2 v[33:34], v53, s[6:7] offset:480
	global_load_dwordx2 v[35:36], v53, s[6:7] offset:560
	v_mov_b32_e32 v31, s2
	v_add_co_u32_e64 v1, s[0:1], s3, v1
	v_addc_co_u32_e64 v2, s[0:1], v2, v31, s[0:1]
	global_load_dwordx2 v[37:38], v[1:2], off
	v_add_co_u32_e64 v1, s[0:1], s3, v1
	v_addc_co_u32_e64 v2, s[0:1], v2, v31, s[0:1]
	global_load_dwordx2 v[39:40], v[1:2], off
	;; [unrolled: 3-line block ×4, first 2 shown]
	global_load_dwordx2 v[45:46], v53, s[6:7] offset:640
	global_load_dwordx2 v[49:50], v53, s[6:7] offset:720
	;; [unrolled: 1-line block ×4, first 2 shown]
	v_add_co_u32_e64 v1, s[0:1], s3, v1
	v_addc_co_u32_e64 v2, s[0:1], v2, v31, s[0:1]
	global_load_dwordx2 v[58:59], v[1:2], off
	global_load_dwordx2 v[60:61], v53, s[6:7] offset:960
	v_add_co_u32_e64 v1, s[0:1], s3, v1
	v_addc_co_u32_e64 v2, s[0:1], v2, v31, s[0:1]
	global_load_dwordx2 v[62:63], v[1:2], off
	v_add_co_u32_e64 v1, s[0:1], s3, v1
	v_addc_co_u32_e64 v2, s[0:1], v2, v31, s[0:1]
	global_load_dwordx2 v[64:65], v53, s[6:7] offset:1040
	global_load_dwordx2 v[66:67], v[1:2], off
	global_load_dwordx2 v[68:69], v53, s[6:7] offset:1120
	v_add_co_u32_e64 v1, s[0:1], s3, v1
	v_addc_co_u32_e64 v2, s[0:1], v2, v31, s[0:1]
	global_load_dwordx2 v[70:71], v[1:2], off
	global_load_dwordx2 v[72:73], v53, s[6:7] offset:1200
	s_waitcnt vmcnt(27)
	v_mul_f32_e32 v1, v9, v18
	v_fma_f32 v2, v10, v17, -v1
	v_mul_f32_e32 v1, v10, v18
	v_fmac_f32_e32 v1, v9, v17
	v_lshlrev_b32_e32 v9, 3, v32
	ds_write_b64 v9, v[1:2]
	s_waitcnt vmcnt(26)
	v_mul_f32_e32 v1, v12, v20
	v_mul_f32_e32 v2, v11, v20
	v_fmac_f32_e32 v1, v11, v19
	v_fma_f32 v2, v12, v19, -v2
	ds_write_b64 v0, v[1:2] offset:80
	s_waitcnt vmcnt(25)
	v_mul_f32_e32 v1, v14, v22
	v_mul_f32_e32 v2, v13, v22
	s_waitcnt vmcnt(24)
	v_mul_f32_e32 v9, v16, v24
	v_mul_f32_e32 v10, v15, v24
	v_fmac_f32_e32 v1, v13, v21
	v_lshl_add_u32 v11, v55, 3, v53
	v_fma_f32 v2, v14, v21, -v2
	v_fmac_f32_e32 v9, v15, v23
	v_fma_f32 v10, v16, v23, -v10
	ds_write2_b64 v11, v[1:2], v[9:10] offset0:20 offset1:30
	s_waitcnt vmcnt(19)
	v_mul_f32_e32 v1, v4, v28
	v_mul_f32_e32 v2, v3, v28
	v_fmac_f32_e32 v1, v3, v27
	v_fma_f32 v2, v4, v27, -v2
	s_waitcnt vmcnt(18)
	v_mul_f32_e32 v3, v6, v30
	v_mul_f32_e32 v4, v5, v30
	v_fmac_f32_e32 v3, v5, v29
	v_fma_f32 v4, v6, v29, -v4
	ds_write2_b64 v11, v[1:2], v[3:4] offset0:40 offset1:50
	s_waitcnt vmcnt(17)
	v_mul_f32_e32 v1, v8, v34
	v_mul_f32_e32 v2, v7, v34
	s_waitcnt vmcnt(16)
	v_mul_f32_e32 v3, v26, v36
	v_mul_f32_e32 v4, v25, v36
	v_fmac_f32_e32 v1, v7, v33
	v_fma_f32 v2, v8, v33, -v2
	v_fmac_f32_e32 v3, v25, v35
	v_fma_f32 v4, v26, v35, -v4
	ds_write2_b64 v11, v[1:2], v[3:4] offset0:60 offset1:70
	s_waitcnt vmcnt(11)
	v_mul_f32_e32 v1, v38, v46
	v_mul_f32_e32 v2, v37, v46
	s_waitcnt vmcnt(10)
	v_mul_f32_e32 v3, v40, v50
	v_mul_f32_e32 v4, v39, v50
	v_fmac_f32_e32 v1, v37, v45
	v_fma_f32 v2, v38, v45, -v2
	;; [unrolled: 11-line block ×5, first 2 shown]
	v_fmac_f32_e32 v3, v70, v72
	v_fma_f32 v4, v71, v72, -v4
	ds_write2_b64 v11, v[1:2], v[3:4] offset0:140 offset1:150
.LBB0_3:
	s_or_b64 exec, exec, s[10:11]
	s_load_dwordx2 s[0:1], s[4:5], 0x20
	s_load_dwordx2 s[10:11], s[4:5], 0x8
	v_lshlrev_b32_e32 v46, 3, v55
	s_waitcnt lgkmcnt(0)
	s_barrier
	s_waitcnt lgkmcnt(0)
                                        ; implicit-def: $vgpr18
                                        ; implicit-def: $vgpr26
                                        ; implicit-def: $vgpr14
                                        ; implicit-def: $vgpr22
                                        ; implicit-def: $vgpr6
                                        ; implicit-def: $vgpr10
                                        ; implicit-def: $vgpr2
                                        ; implicit-def: $vgpr28
                                        ; implicit-def: $vgpr30
	s_and_saveexec_b64 s[2:3], vcc
	s_cbranch_execz .LBB0_5
; %bb.4:
	v_lshlrev_b32_e32 v1, 3, v32
	v_lshl_add_u32 v16, v54, 3, v46
	ds_read_b64 v[30:31], v1
	ds_read_b64 v[28:29], v0 offset:80
	ds_read2_b64 v[0:3], v16 offset0:20 offset1:30
	ds_read2_b64 v[8:11], v16 offset0:40 offset1:50
	;; [unrolled: 1-line block ×7, first 2 shown]
.LBB0_5:
	s_or_b64 exec, exec, s[2:3]
	s_waitcnt lgkmcnt(3)
	v_sub_f32_e32 v20, v30, v20
	v_sub_f32_e32 v21, v31, v21
	s_waitcnt lgkmcnt(1)
	v_sub_f32_e32 v24, v8, v24
	v_sub_f32_e32 v25, v9, v25
	;; [unrolled: 1-line block ×4, first 2 shown]
	s_waitcnt lgkmcnt(0)
	v_sub_f32_e32 v16, v4, v16
	v_sub_f32_e32 v17, v5, v17
	;; [unrolled: 1-line block ×8, first 2 shown]
	v_fma_f32 v30, v30, 2.0, -v20
	v_fma_f32 v31, v31, 2.0, -v21
	;; [unrolled: 1-line block ×13, first 2 shown]
	v_sub_f32_e32 v19, v7, v19
	v_fma_f32 v6, v6, 2.0, -v18
	v_sub_f32_e32 v25, v20, v25
	v_add_f32_e32 v24, v24, v21
	v_sub_f32_e32 v27, v22, v27
	v_sub_f32_e32 v15, v3, v15
	v_fma_f32 v38, v7, 2.0, -v19
	v_sub_f32_e32 v39, v30, v8
	v_sub_f32_e32 v40, v31, v9
	v_fma_f32 v2, v20, 2.0, -v25
	v_fma_f32 v5, v21, 2.0, -v24
	v_sub_f32_e32 v20, v33, v4
	v_sub_f32_e32 v21, v34, v35
	v_add_f32_e32 v16, v16, v13
	v_sub_f32_e32 v41, v28, v10
	v_sub_f32_e32 v42, v29, v11
	v_fma_f32 v7, v22, 2.0, -v27
	v_sub_f32_e32 v22, v36, v6
	v_fma_f32 v37, v3, 2.0, -v15
	v_fma_f32 v1, v31, 2.0, -v40
	v_sub_f32_e32 v17, v12, v17
	v_fma_f32 v13, v13, 2.0, -v16
	v_fma_f32 v3, v28, 2.0, -v41
	;; [unrolled: 1-line block ×3, first 2 shown]
	v_add_f32_e32 v26, v26, v23
	v_fma_f32 v35, v36, 2.0, -v22
	v_sub_f32_e32 v19, v14, v19
	v_add_f32_e32 v18, v18, v15
	v_mov_b32_e32 v11, v5
	v_sub_f32_e32 v28, v39, v21
	v_add_f32_e32 v29, v20, v40
	v_mov_b32_e32 v31, v25
	v_mov_b32_e32 v36, v24
	v_fma_f32 v0, v30, 2.0, -v39
	v_fma_f32 v12, v12, 2.0, -v17
	;; [unrolled: 1-line block ×3, first 2 shown]
	v_sub_f32_e32 v23, v37, v38
	v_fma_f32 v38, v14, 2.0, -v19
	v_fma_f32 v43, v15, 2.0, -v18
	v_mov_b32_e32 v10, v2
	v_fmac_f32_e32 v11, 0xbf3504f3, v13
	v_fma_f32 v14, v39, 2.0, -v28
	v_fma_f32 v15, v40, 2.0, -v29
	v_fmac_f32_e32 v31, 0x3f3504f3, v17
	v_fmac_f32_e32 v36, 0x3f3504f3, v16
	v_mov_b32_e32 v39, v27
	v_mov_b32_e32 v40, v26
	v_fma_f32 v8, v33, 2.0, -v20
	v_fma_f32 v30, v34, 2.0, -v21
	v_fmac_f32_e32 v10, 0xbf3504f3, v12
	v_fmac_f32_e32 v11, 0x3f3504f3, v12
	;; [unrolled: 1-line block ×4, first 2 shown]
	v_sub_f32_e32 v12, v3, v35
	v_mov_b32_e32 v35, v9
	v_fmac_f32_e32 v39, 0x3f3504f3, v19
	v_fmac_f32_e32 v40, 0x3f3504f3, v18
	v_fma_f32 v37, v37, 2.0, -v23
	v_sub_f32_e32 v6, v0, v8
	v_sub_f32_e32 v8, v1, v30
	v_fma_f32 v33, v25, 2.0, -v31
	v_fma_f32 v34, v24, 2.0, -v36
	v_mov_b32_e32 v30, v7
	v_fmac_f32_e32 v35, 0xbf3504f3, v43
	v_fmac_f32_e32 v39, 0xbf3504f3, v18
	;; [unrolled: 1-line block ×4, first 2 shown]
	v_sub_f32_e32 v13, v4, v37
	v_fmac_f32_e32 v30, 0xbf3504f3, v38
	v_fmac_f32_e32 v35, 0x3f3504f3, v38
	v_sub_f32_e32 v37, v41, v23
	v_add_f32_e32 v38, v22, v42
	v_fma_f32 v18, v27, 2.0, -v39
	v_fma_f32 v19, v26, 2.0, -v40
	v_mov_b32_e32 v22, v33
	v_mov_b32_e32 v23, v34
	v_fmac_f32_e32 v22, 0xbec3ef15, v18
	v_fmac_f32_e32 v23, 0xbec3ef15, v19
	;; [unrolled: 1-line block ×3, first 2 shown]
	v_fma_f32 v16, v41, 2.0, -v37
	v_fma_f32 v17, v42, 2.0, -v38
	v_mov_b32_e32 v20, v14
	v_mov_b32_e32 v21, v15
	v_fmac_f32_e32 v22, 0xbf6c835e, v19
	v_fmac_f32_e32 v23, 0x3f6c835e, v18
	v_mov_b32_e32 v18, v10
	v_mov_b32_e32 v19, v11
	;; [unrolled: 1-line block ×6, first 2 shown]
	v_fmac_f32_e32 v20, 0xbf3504f3, v16
	v_fmac_f32_e32 v21, 0xbf3504f3, v17
	v_fmac_f32_e32 v18, 0x3ec3ef15, v30
	v_fmac_f32_e32 v19, 0x3ec3ef15, v35
	v_fmac_f32_e32 v24, 0x3f3504f3, v37
	v_fmac_f32_e32 v25, 0x3f3504f3, v38
	v_fmac_f32_e32 v26, 0x3f6c835e, v39
	v_fmac_f32_e32 v27, 0x3f6c835e, v40
	v_fmac_f32_e32 v20, 0xbf3504f3, v17
	v_fmac_f32_e32 v21, 0x3f3504f3, v16
	v_sub_f32_e32 v16, v6, v13
	v_add_f32_e32 v17, v12, v8
	v_fmac_f32_e32 v18, 0xbf6c835e, v35
	v_fmac_f32_e32 v19, 0x3f6c835e, v30
	;; [unrolled: 1-line block ×6, first 2 shown]
	v_lshlrev_b32_e32 v58, 4, v54
	s_barrier
	s_and_saveexec_b64 s[2:3], vcc
	s_cbranch_execz .LBB0_7
; %bb.6:
	v_fma_f32 v2, v2, 2.0, -v10
	v_fma_f32 v42, v10, 2.0, -v18
	;; [unrolled: 1-line block ×3, first 2 shown]
	v_mov_b32_e32 v10, v2
	v_fma_f32 v9, v9, 2.0, -v35
	v_fmac_f32_e32 v10, 0xbf6c835e, v7
	v_fma_f32 v5, v5, 2.0, -v11
	v_fmac_f32_e32 v10, 0xbec3ef15, v9
	v_fma_f32 v43, v11, 2.0, -v19
	v_fma_f32 v49, v14, 2.0, -v20
	v_mov_b32_e32 v11, v5
	v_fma_f32 v14, v2, 2.0, -v10
	v_fma_f32 v1, v1, 2.0, -v8
	;; [unrolled: 1-line block ×3, first 2 shown]
	v_fmac_f32_e32 v11, 0xbf6c835e, v9
	v_sub_f32_e32 v9, v1, v2
	v_fma_f32 v13, v1, 2.0, -v9
	v_fma_f32 v0, v0, 2.0, -v6
	v_fma_f32 v1, v3, 2.0, -v12
	v_fma_f32 v41, v8, 2.0, -v17
	v_fmac_f32_e32 v11, 0x3ec3ef15, v7
	v_sub_f32_e32 v8, v0, v1
	v_fma_f32 v50, v15, 2.0, -v21
	v_fma_f32 v15, v5, 2.0, -v11
	;; [unrolled: 1-line block ×3, first 2 shown]
	v_add_lshl_u32 v0, v55, v58, 3
	v_fma_f32 v39, v36, 2.0, -v27
	v_fma_f32 v38, v31, 2.0, -v26
	;; [unrolled: 1-line block ×7, first 2 shown]
	ds_write_b128 v0, v[12:15]
	ds_write_b128 v0, v[49:52] offset:16
	ds_write_b128 v0, v[40:43] offset:32
	;; [unrolled: 1-line block ×7, first 2 shown]
.LBB0_7:
	s_or_b64 exec, exec, s[2:3]
	v_mov_b32_e32 v0, s10
	s_movk_i32 s4, 0x48
	v_mov_b32_e32 v1, s11
	v_mad_u64_u32 v[28:29], s[4:5], v54, s4, v[0:1]
	s_load_dwordx4 s[0:3], s[0:1], 0x0
	s_waitcnt lgkmcnt(0)
	s_barrier
	global_load_dwordx4 v[12:15], v[28:29], off
	global_load_dwordx4 v[8:11], v[28:29], off offset:16
	global_load_dwordx4 v[4:7], v[28:29], off offset:32
	;; [unrolled: 1-line block ×3, first 2 shown]
	global_load_dwordx2 v[49:50], v[28:29], off offset:64
	v_lshlrev_b32_e32 v57, 3, v32
	ds_read2_b64 v[28:31], v57 offset1:16
	ds_read2_b64 v[32:35], v57 offset0:32 offset1:48
	ds_read2_b64 v[36:39], v57 offset0:64 offset1:80
	;; [unrolled: 1-line block ×4, first 2 shown]
	s_mov_b32 s10, 0x3f737871
	s_mov_b32 s11, 0x3f167918
	s_mov_b32 s4, 0xbf737871
	s_mov_b32 s5, 0xbf167918
	s_waitcnt vmcnt(4) lgkmcnt(4)
	v_mul_f32_e32 v44, v31, v13
	v_mul_f32_e32 v45, v30, v13
	s_waitcnt lgkmcnt(3)
	v_mul_f32_e32 v47, v33, v15
	s_waitcnt vmcnt(3)
	v_mul_f32_e32 v52, v35, v9
	s_waitcnt lgkmcnt(2)
	v_mul_f32_e32 v63, v37, v11
	s_waitcnt vmcnt(2) lgkmcnt(1)
	v_mul_f32_e32 v67, v41, v7
	s_waitcnt vmcnt(1) lgkmcnt(0)
	v_mul_f32_e32 v71, v60, v3
	v_mul_f32_e32 v51, v32, v15
	;; [unrolled: 1-line block ×6, first 2 shown]
	v_fma_f32 v44, v30, v12, -v44
	v_fmac_f32_e32 v45, v31, v12
	v_fma_f32 v30, v32, v14, -v47
	v_fma_f32 v31, v34, v8, -v52
	v_fma_f32 v32, v36, v10, -v63
	v_fma_f32 v34, v40, v6, -v67
	v_fma_f32 v36, v59, v2, -v71
	v_mul_f32_e32 v68, v40, v7
	v_mul_f32_e32 v72, v59, v3
	v_fmac_f32_e32 v51, v33, v14
	v_fmac_f32_e32 v56, v35, v8
	v_fma_f32 v35, v42, v0, -v69
	v_fmac_f32_e32 v70, v43, v0
	v_sub_f32_e32 v42, v30, v32
	v_sub_f32_e32 v43, v36, v34
	v_add_f32_e32 v47, v30, v36
	v_fmac_f32_e32 v64, v37, v10
	v_fmac_f32_e32 v68, v41, v6
	;; [unrolled: 1-line block ×3, first 2 shown]
	v_add_f32_e32 v60, v29, v51
	v_add_f32_e32 v42, v42, v43
	v_fma_f32 v43, -0.5, v47, v28
	v_mul_f32_e32 v66, v38, v5
	v_sub_f32_e32 v41, v64, v68
	v_add_f32_e32 v47, v60, v64
	v_mov_b32_e32 v60, v43
	v_mul_f32_e32 v65, v39, v5
	v_fmac_f32_e32 v66, v39, v4
	v_add_f32_e32 v39, v32, v34
	v_sub_f32_e32 v40, v51, v72
	v_sub_f32_e32 v52, v32, v30
	;; [unrolled: 1-line block ×3, first 2 shown]
	v_fmac_f32_e32 v43, 0x3f737871, v41
	v_fmac_f32_e32 v60, 0xbf737871, v41
	v_fma_f32 v33, v38, v4, -v65
	v_add_f32_e32 v38, v28, v30
	v_fma_f32 v39, -0.5, v39, v28
	v_add_f32_e32 v28, v52, v59
	v_fmac_f32_e32 v43, 0xbf167918, v40
	v_fmac_f32_e32 v60, 0x3f167918, v40
	s_waitcnt vmcnt(0)
	v_mul_f32_e32 v73, v62, v50
	v_mov_b32_e32 v59, v39
	v_fmac_f32_e32 v43, 0x3e9e377a, v28
	v_fmac_f32_e32 v60, 0x3e9e377a, v28
	v_add_f32_e32 v28, v64, v68
	v_mul_f32_e32 v74, v61, v50
	v_fma_f32 v37, v61, v49, -v73
	v_fmac_f32_e32 v39, 0xbf737871, v40
	v_fmac_f32_e32 v59, 0x3f737871, v40
	v_fma_f32 v61, -0.5, v28, v29
	v_add_f32_e32 v38, v38, v32
	v_fmac_f32_e32 v39, 0xbf167918, v41
	v_fmac_f32_e32 v59, 0x3f167918, v41
	v_sub_f32_e32 v28, v30, v36
	v_mov_b32_e32 v41, v61
	v_add_f32_e32 v38, v38, v34
	v_fmac_f32_e32 v41, 0xbf737871, v28
	v_sub_f32_e32 v30, v32, v34
	v_sub_f32_e32 v32, v51, v64
	;; [unrolled: 1-line block ×3, first 2 shown]
	v_fmac_f32_e32 v61, 0x3f737871, v28
	v_fmac_f32_e32 v41, 0xbf167918, v30
	v_add_f32_e32 v32, v32, v34
	v_fmac_f32_e32 v61, 0x3f167918, v30
	v_fmac_f32_e32 v41, 0x3e9e377a, v32
	v_fmac_f32_e32 v61, 0x3e9e377a, v32
	v_add_f32_e32 v32, v51, v72
	v_fmac_f32_e32 v74, v62, v49
	v_fma_f32 v62, -0.5, v32, v29
	v_mov_b32_e32 v63, v62
	v_fmac_f32_e32 v63, 0x3f737871, v30
	v_fmac_f32_e32 v62, 0xbf737871, v30
	;; [unrolled: 1-line block ×4, first 2 shown]
	v_add_f32_e32 v28, v44, v31
	v_add_f32_e32 v28, v28, v33
	;; [unrolled: 1-line block ×4, first 2 shown]
	v_sub_f32_e32 v29, v64, v51
	v_sub_f32_e32 v32, v68, v72
	v_add_f32_e32 v36, v28, v37
	v_add_f32_e32 v28, v33, v35
	v_add_f32_e32 v29, v29, v32
	v_fma_f32 v40, -0.5, v28, v44
	v_fmac_f32_e32 v63, 0x3e9e377a, v29
	v_fmac_f32_e32 v62, 0x3e9e377a, v29
	v_sub_f32_e32 v28, v56, v74
	v_mov_b32_e32 v29, v40
	v_fmac_f32_e32 v29, 0x3f737871, v28
	v_sub_f32_e32 v30, v66, v70
	v_sub_f32_e32 v32, v31, v33
	;; [unrolled: 1-line block ×3, first 2 shown]
	v_fmac_f32_e32 v40, 0xbf737871, v28
	v_fmac_f32_e32 v29, 0x3f167918, v30
	v_add_f32_e32 v32, v32, v34
	v_fmac_f32_e32 v40, 0xbf167918, v30
	v_fmac_f32_e32 v29, 0x3e9e377a, v32
	;; [unrolled: 1-line block ×3, first 2 shown]
	v_add_f32_e32 v32, v31, v37
	v_fmac_f32_e32 v44, -0.5, v32
	v_fmac_f32_e32 v39, 0x3e9e377a, v42
	v_fmac_f32_e32 v59, 0x3e9e377a, v42
	v_mov_b32_e32 v42, v44
	v_fmac_f32_e32 v42, 0xbf737871, v30
	v_fmac_f32_e32 v44, 0x3f737871, v30
	;; [unrolled: 1-line block ×4, first 2 shown]
	v_add_f32_e32 v28, v45, v56
	v_add_f32_e32 v28, v28, v66
	;; [unrolled: 1-line block ×5, first 2 shown]
	v_sub_f32_e32 v32, v33, v31
	v_sub_f32_e32 v34, v35, v37
	v_fma_f32 v65, -0.5, v28, v45
	v_add_f32_e32 v32, v32, v34
	v_sub_f32_e32 v28, v31, v37
	v_mov_b32_e32 v31, v65
	v_fmac_f32_e32 v42, 0x3e9e377a, v32
	v_fmac_f32_e32 v44, 0x3e9e377a, v32
	;; [unrolled: 1-line block ×3, first 2 shown]
	v_sub_f32_e32 v30, v33, v35
	v_sub_f32_e32 v32, v56, v66
	;; [unrolled: 1-line block ×3, first 2 shown]
	v_fmac_f32_e32 v65, 0x3f737871, v28
	v_fmac_f32_e32 v31, 0xbf167918, v30
	v_add_f32_e32 v32, v32, v33
	v_fmac_f32_e32 v65, 0x3f167918, v30
	v_fmac_f32_e32 v31, 0x3e9e377a, v32
	;; [unrolled: 1-line block ×3, first 2 shown]
	v_add_f32_e32 v32, v56, v74
	v_fmac_f32_e32 v45, -0.5, v32
	v_mov_b32_e32 v33, v45
	v_fmac_f32_e32 v33, 0x3f737871, v30
	v_sub_f32_e32 v32, v66, v56
	v_sub_f32_e32 v34, v70, v74
	v_fmac_f32_e32 v45, 0xbf737871, v30
	v_fmac_f32_e32 v33, 0xbf167918, v28
	v_add_f32_e32 v32, v32, v34
	v_fmac_f32_e32 v45, 0x3f167918, v28
	v_fmac_f32_e32 v33, 0x3e9e377a, v32
	;; [unrolled: 1-line block ×3, first 2 shown]
	v_mul_f32_e32 v69, 0xbf737871, v42
	v_add_f32_e32 v47, v47, v68
	v_mul_f32_e32 v37, 0x3f167918, v31
	v_mul_f32_e32 v56, 0x3f737871, v33
	;; [unrolled: 1-line block ×5, first 2 shown]
	v_fmac_f32_e32 v69, 0x3e9e377a, v33
	v_mul_f32_e32 v33, 0x3e9e377a, v45
	v_mul_f32_e32 v35, 0x3f4f1bbd, v65
	v_add_f32_e32 v47, v47, v72
	v_fmac_f32_e32 v37, 0x3f4f1bbd, v29
	v_fmac_f32_e32 v56, 0x3e9e377a, v42
	v_fma_f32 v66, v45, s10, -v32
	v_fma_f32 v67, v65, s11, -v34
	v_fmac_f32_e32 v68, 0x3f4f1bbd, v31
	v_fma_f32 v45, v44, s4, -v33
	v_fma_f32 v65, v40, s5, -v35
	v_add_f32_e32 v51, v38, v36
	v_add_f32_e32 v28, v59, v37
	;; [unrolled: 1-line block ×10, first 2 shown]
	v_sub_f32_e32 v36, v38, v36
	v_sub_f32_e32 v38, v59, v37
	;; [unrolled: 1-line block ×10, first 2 shown]
	v_lshl_add_u32 v56, v54, 3, v46
	ds_write2_b64 v57, v[51:52], v[28:29] offset1:16
	ds_write2_b64 v56, v[30:31], v[32:33] offset0:32 offset1:48
	ds_write2_b64 v56, v[34:35], v[36:37] offset0:64 offset1:80
	;; [unrolled: 1-line block ×4, first 2 shown]
	s_waitcnt lgkmcnt(0)
	s_barrier
	s_and_saveexec_b64 s[4:5], vcc
	s_cbranch_execz .LBB0_9
; %bb.8:
	global_load_dwordx2 v[59:60], v53, s[6:7] offset:1280
	ds_read_b64 v[46:47], v57
	s_add_u32 s10, s6, 0x500
	s_addc_u32 s11, s7, 0
	s_waitcnt vmcnt(0) lgkmcnt(0)
	v_mul_f32_e32 v61, v47, v60
	v_mul_f32_e32 v62, v46, v60
	v_fma_f32 v61, v46, v59, -v61
	v_fmac_f32_e32 v62, v47, v59
	global_load_dwordx2 v[46:47], v53, s[10:11] offset:80
	ds_write_b64 v57, v[61:62]
	ds_read2_b64 v[59:62], v56 offset0:10 offset1:20
	s_waitcnt vmcnt(0) lgkmcnt(0)
	v_mul_f32_e32 v63, v60, v47
	v_mul_f32_e32 v64, v59, v47
	v_fma_f32 v63, v59, v46, -v63
	v_fmac_f32_e32 v64, v60, v46
	global_load_dwordx2 v[46:47], v53, s[10:11] offset:160
	s_waitcnt vmcnt(0)
	v_mul_f32_e32 v59, v62, v47
	v_mul_f32_e32 v60, v61, v47
	v_fma_f32 v59, v61, v46, -v59
	v_fmac_f32_e32 v60, v62, v46
	global_load_dwordx2 v[46:47], v53, s[10:11] offset:240
	ds_write2_b64 v56, v[63:64], v[59:60] offset0:10 offset1:20
	ds_read2_b64 v[59:62], v56 offset0:30 offset1:40
	s_waitcnt vmcnt(0) lgkmcnt(0)
	v_mul_f32_e32 v63, v60, v47
	v_mul_f32_e32 v64, v59, v47
	v_fma_f32 v63, v59, v46, -v63
	v_fmac_f32_e32 v64, v60, v46
	global_load_dwordx2 v[46:47], v53, s[10:11] offset:320
	s_waitcnt vmcnt(0)
	v_mul_f32_e32 v59, v62, v47
	v_mul_f32_e32 v60, v61, v47
	v_fma_f32 v59, v61, v46, -v59
	v_fmac_f32_e32 v60, v62, v46
	global_load_dwordx2 v[46:47], v53, s[10:11] offset:400
	ds_write2_b64 v56, v[63:64], v[59:60] offset0:30 offset1:40
	;; [unrolled: 14-line block ×6, first 2 shown]
	ds_read2_b64 v[59:62], v56 offset0:130 offset1:140
	s_waitcnt vmcnt(0) lgkmcnt(0)
	v_mul_f32_e32 v63, v60, v47
	v_mul_f32_e32 v64, v59, v47
	v_fma_f32 v63, v59, v46, -v63
	v_fmac_f32_e32 v64, v60, v46
	global_load_dwordx2 v[46:47], v53, s[10:11] offset:1120
	s_waitcnt vmcnt(0)
	v_mul_f32_e32 v59, v62, v47
	v_mul_f32_e32 v60, v61, v47
	v_fma_f32 v59, v61, v46, -v59
	v_fmac_f32_e32 v60, v62, v46
	ds_write2_b64 v56, v[63:64], v[59:60] offset0:130 offset1:140
	global_load_dwordx2 v[59:60], v53, s[10:11] offset:1200
	ds_read_b64 v[46:47], v56 offset:1200
	s_waitcnt vmcnt(0) lgkmcnt(0)
	v_mul_f32_e32 v61, v47, v60
	v_mul_f32_e32 v62, v46, v60
	v_fma_f32 v61, v46, v59, -v61
	v_fmac_f32_e32 v62, v47, v59
	ds_write_b64 v56, v[61:62] offset:1200
.LBB0_9:
	s_or_b64 exec, exec, s[4:5]
	s_waitcnt lgkmcnt(0)
	s_barrier
	s_and_saveexec_b64 s[4:5], vcc
	s_cbranch_execz .LBB0_11
; %bb.10:
	ds_read2_b64 v[28:31], v56 offset0:10 offset1:20
	ds_read2_b64 v[32:35], v56 offset0:30 offset1:40
	ds_read2_b64 v[36:39], v56 offset0:50 offset1:60
	ds_read2_b64 v[40:43], v56 offset0:70 offset1:80
	ds_read2_b64 v[16:19], v56 offset0:130 offset1:140
	ds_read2_b64 v[44:47], v56 offset0:90 offset1:100
	ds_read2_b64 v[20:23], v56 offset0:110 offset1:120
	ds_read_b64 v[51:52], v57
	ds_read_b64 v[26:27], v56 offset:1200
	s_waitcnt lgkmcnt(4)
	v_mov_b32_e32 v24, v18
	v_mov_b32_e32 v25, v19
	;; [unrolled: 1-line block ×4, first 2 shown]
	s_waitcnt lgkmcnt(2)
	v_mov_b32_e32 v16, v22
	v_mov_b32_e32 v17, v23
	;; [unrolled: 1-line block ×6, first 2 shown]
.LBB0_11:
	s_or_b64 exec, exec, s[4:5]
	s_waitcnt lgkmcnt(0)
	s_barrier
	s_and_saveexec_b64 s[4:5], vcc
	s_cbranch_execz .LBB0_13
; %bb.12:
	v_sub_f32_e32 v43, v52, v43
	v_sub_f32_e32 v17, v35, v17
	v_sub_f32_e32 v42, v51, v42
	v_sub_f32_e32 v46, v31, v21
	v_sub_f32_e32 v21, v38, v24
	v_sub_f32_e32 v61, v30, v20
	v_add_f32_e32 v72, v17, v42
	v_fma_f32 v52, v52, 2.0, -v43
	v_fma_f32 v17, v35, 2.0, -v17
	v_sub_f32_e32 v45, v29, v45
	v_sub_f32_e32 v65, v36, v18
	v_sub_f32_e32 v18, v37, v19
	v_sub_f32_e32 v74, v52, v17
	v_fma_f32 v35, v30, 2.0, -v61
	v_fma_f32 v17, v38, 2.0, -v21
	v_sub_f32_e32 v26, v40, v26
	v_sub_f32_e32 v68, v32, v22
	v_sub_f32_e32 v38, v35, v17
	v_fma_f32 v29, v29, 2.0, -v45
	v_fma_f32 v17, v37, 2.0, -v18
	v_sub_f32_e32 v63, v33, v23
	v_sub_f32_e32 v27, v41, v27
	v_sub_f32_e32 v37, v29, v17
	;; [unrolled: 5-line block ×4, first 2 shown]
	v_fma_f32 v41, v28, 2.0, -v44
	v_fma_f32 v17, v36, 2.0, -v65
	v_sub_f32_e32 v59, v43, v16
	v_sub_f32_e32 v66, v45, v65
	v_add_f32_e32 v70, v18, v44
	v_sub_f32_e32 v65, v41, v17
	v_fma_f32 v36, v31, 2.0, -v46
	v_fma_f32 v17, v39, 2.0, -v25
	;; [unrolled: 1-line block ×4, first 2 shown]
	v_add_f32_e32 v62, v25, v61
	v_add_f32_e32 v69, v27, v68
	v_mov_b32_e32 v71, v70
	v_sub_f32_e32 v25, v36, v17
	v_sub_f32_e32 v16, v39, v16
	;; [unrolled: 1-line block ×3, first 2 shown]
	v_mov_b32_e32 v60, v59
	v_mov_b32_e32 v67, v66
	v_fmac_f32_e32 v71, 0x3f3504f3, v69
	v_mov_b32_e32 v73, v72
	v_add_f32_e32 v51, v25, v16
	v_fma_f32 v52, v52, 2.0, -v74
	v_fma_f32 v25, v36, 2.0, -v25
	v_fmac_f32_e32 v60, 0x3f3504f3, v47
	v_fmac_f32_e32 v67, 0x3f3504f3, v64
	;; [unrolled: 1-line block ×4, first 2 shown]
	v_fma_f32 v45, v45, 2.0, -v66
	v_fma_f32 v32, v63, 2.0, -v64
	v_sub_f32_e32 v64, v52, v25
	v_fma_f32 v41, v41, 2.0, -v65
	v_fma_f32 v25, v30, 2.0, -v26
	v_fmac_f32_e32 v60, 0xbf3504f3, v62
	v_fmac_f32_e32 v67, 0xbf3504f3, v69
	;; [unrolled: 1-line block ×3, first 2 shown]
	v_fma_f32 v27, v46, 2.0, -v47
	v_fma_f32 v31, v61, 2.0, -v62
	v_mov_b32_e32 v47, v45
	v_fma_f32 v34, v68, 2.0, -v69
	v_fma_f32 v61, v44, 2.0, -v70
	v_sub_f32_e32 v68, v41, v25
	v_fma_f32 v69, v39, 2.0, -v16
	v_fma_f32 v25, v35, 2.0, -v38
	v_fmac_f32_e32 v47, 0xbf3504f3, v32
	v_mov_b32_e32 v62, v61
	v_sub_f32_e32 v78, v69, v25
	v_fma_f32 v25, v33, 2.0, -v40
	v_fma_f32 v33, v59, 2.0, -v60
	v_fmac_f32_e32 v47, 0xbf3504f3, v34
	v_fmac_f32_e32 v62, 0xbf3504f3, v34
	v_fma_f32 v34, v66, 2.0, -v67
	v_mov_b32_e32 v36, v33
	v_sub_f32_e32 v75, v74, v38
	v_fmac_f32_e32 v36, 0xbec3ef15, v34
	v_fma_f32 v38, v70, 2.0, -v71
	v_fmac_f32_e32 v36, 0xbf6c835e, v38
	v_add_f32_e32 v77, v40, v65
	v_fma_f32 v40, v33, 2.0, -v36
	v_fma_f32 v33, v72, 2.0, -v73
	v_mov_b32_e32 v35, v33
	v_fmac_f32_e32 v35, 0xbec3ef15, v38
	v_fmac_f32_e32 v35, 0x3f6c835e, v34
	v_sub_f32_e32 v76, v37, v26
	v_fma_f32 v39, v33, 2.0, -v35
	v_fma_f32 v33, v74, 2.0, -v75
	;; [unrolled: 1-line block ×4, first 2 shown]
	v_mov_b32_e32 v34, v33
	v_fma_f32 v43, v43, 2.0, -v59
	v_fmac_f32_e32 v34, 0xbf3504f3, v37
	v_fma_f32 v44, v65, 2.0, -v77
	v_mov_b32_e32 v46, v43
	v_fmac_f32_e32 v34, 0xbf3504f3, v44
	v_fma_f32 v16, v16, 2.0, -v51
	v_fmac_f32_e32 v46, 0xbf3504f3, v27
	v_fma_f32 v38, v33, 2.0, -v34
	v_mov_b32_e32 v33, v16
	v_fmac_f32_e32 v46, 0xbf3504f3, v31
	v_fmac_f32_e32 v33, 0xbf3504f3, v44
	v_mov_b32_e32 v28, v46
	v_fma_f32 v42, v42, 2.0, -v72
	v_fmac_f32_e32 v33, 0x3f3504f3, v37
	v_fmac_f32_e32 v28, 0x3ec3ef15, v47
	;; [unrolled: 1-line block ×3, first 2 shown]
	v_mov_b32_e32 v63, v42
	v_fma_f32 v37, v16, 2.0, -v33
	v_fma_f32 v16, v43, 2.0, -v46
	v_fmac_f32_e32 v28, 0xbf6c835e, v62
	v_fmac_f32_e32 v63, 0xbf3504f3, v31
	v_fma_f32 v45, v45, 2.0, -v47
	v_mov_b32_e32 v44, v16
	v_fma_f32 v32, v46, 2.0, -v28
	v_fmac_f32_e32 v63, 0x3f3504f3, v27
	v_fmac_f32_e32 v44, 0xbf6c835e, v45
	v_fma_f32 v46, v61, 2.0, -v62
	v_mov_b32_e32 v27, v63
	v_fmac_f32_e32 v44, 0xbec3ef15, v46
	v_fmac_f32_e32 v27, 0x3ec3ef15, v62
	v_fma_f32 v62, v16, 2.0, -v44
	v_fma_f32 v16, v42, 2.0, -v63
	v_mov_b32_e32 v43, v16
	v_fmac_f32_e32 v43, 0xbf6c835e, v46
	v_mov_b32_e32 v20, v60
	v_sub_f32_e32 v80, v79, v25
	v_fmac_f32_e32 v43, 0x3ec3ef15, v45
	v_fmac_f32_e32 v20, 0x3f6c835e, v67
	v_fma_f32 v61, v16, 2.0, -v43
	v_fma_f32 v16, v52, 2.0, -v64
	;; [unrolled: 1-line block ×3, first 2 shown]
	v_fmac_f32_e32 v20, 0xbec3ef15, v71
	v_sub_f32_e32 v42, v16, v42
	v_fma_f32 v24, v60, 2.0, -v20
	v_mov_b32_e32 v19, v73
	v_mov_b32_e32 v18, v75
	v_mov_b32_e32 v17, v51
	v_fma_f32 v60, v16, 2.0, -v42
	v_fma_f32 v16, v69, 2.0, -v78
	v_fma_f32 v41, v41, 2.0, -v68
	v_fmac_f32_e32 v19, 0x3f6c835e, v71
	v_fmac_f32_e32 v18, 0x3f3504f3, v76
	;; [unrolled: 1-line block ×3, first 2 shown]
	v_sub_f32_e32 v41, v16, v41
	v_fmac_f32_e32 v19, 0x3ec3ef15, v67
	v_fmac_f32_e32 v18, 0xbf3504f3, v77
	v_fmac_f32_e32 v17, 0x3f3504f3, v76
	v_fmac_f32_e32 v27, 0x3f6c835e, v47
	v_sub_f32_e32 v26, v64, v68
	v_add_f32_e32 v25, v80, v78
	v_fma_f32 v59, v16, 2.0, -v41
	v_add_lshl_u32 v16, v55, v58, 3
	v_fma_f32 v23, v73, 2.0, -v19
	v_fma_f32 v22, v75, 2.0, -v18
	;; [unrolled: 1-line block ×6, first 2 shown]
	ds_write_b128 v16, v[59:62]
	ds_write_b128 v16, v[37:40] offset:16
	ds_write_b128 v16, v[29:32] offset:32
	;; [unrolled: 1-line block ×7, first 2 shown]
.LBB0_13:
	s_or_b64 exec, exec, s[4:5]
	s_waitcnt lgkmcnt(0)
	s_barrier
	ds_read2_b64 v[16:19], v57 offset1:16
	ds_read2_b64 v[20:23], v57 offset0:32 offset1:48
	ds_read2_b64 v[24:27], v57 offset0:64 offset1:80
	;; [unrolled: 1-line block ×4, first 2 shown]
	s_waitcnt lgkmcnt(4)
	v_mul_f32_e32 v36, v13, v19
	v_mul_f32_e32 v13, v13, v18
	v_fmac_f32_e32 v36, v12, v18
	v_fma_f32 v12, v12, v19, -v13
	s_waitcnt lgkmcnt(3)
	v_mul_f32_e32 v13, v15, v21
	v_mul_f32_e32 v15, v15, v20
	v_fmac_f32_e32 v13, v14, v20
	v_fma_f32 v14, v14, v21, -v15
	v_mul_f32_e32 v15, v9, v23
	v_mul_f32_e32 v9, v9, v22
	v_fmac_f32_e32 v15, v8, v22
	v_fma_f32 v8, v8, v23, -v9
	s_waitcnt lgkmcnt(2)
	v_mul_f32_e32 v9, v11, v25
	v_mul_f32_e32 v11, v11, v24
	v_fmac_f32_e32 v9, v10, v24
	v_fma_f32 v10, v10, v25, -v11
	;; [unrolled: 9-line block ×3, first 2 shown]
	v_mul_f32_e32 v7, v1, v31
	v_mul_f32_e32 v1, v1, v30
	v_fmac_f32_e32 v7, v0, v30
	v_fma_f32 v0, v0, v31, -v1
	s_waitcnt lgkmcnt(0)
	v_mul_f32_e32 v1, v3, v33
	v_mul_f32_e32 v3, v3, v32
	v_add_f32_e32 v20, v9, v5
	v_fmac_f32_e32 v1, v2, v32
	v_fma_f32 v2, v2, v33, -v3
	v_fma_f32 v20, -0.5, v20, v16
	v_sub_f32_e32 v21, v14, v2
	v_mov_b32_e32 v22, v20
	v_fmac_f32_e32 v22, 0xbf737871, v21
	v_sub_f32_e32 v23, v10, v6
	v_sub_f32_e32 v24, v13, v9
	;; [unrolled: 1-line block ×3, first 2 shown]
	v_fmac_f32_e32 v20, 0x3f737871, v21
	v_fmac_f32_e32 v22, 0xbf167918, v23
	v_add_f32_e32 v24, v24, v25
	v_fmac_f32_e32 v20, 0x3f167918, v23
	v_fmac_f32_e32 v22, 0x3e9e377a, v24
	;; [unrolled: 1-line block ×3, first 2 shown]
	v_add_f32_e32 v24, v13, v1
	v_add_f32_e32 v19, v16, v13
	v_fma_f32 v16, -0.5, v24, v16
	v_mov_b32_e32 v24, v16
	v_add_f32_e32 v19, v19, v9
	v_fmac_f32_e32 v24, 0x3f737871, v23
	v_fmac_f32_e32 v16, 0xbf737871, v23
	v_add_f32_e32 v23, v10, v6
	v_add_f32_e32 v19, v19, v5
	v_sub_f32_e32 v25, v9, v13
	v_sub_f32_e32 v26, v5, v1
	v_fma_f32 v23, -0.5, v23, v17
	v_add_f32_e32 v19, v19, v1
	v_fmac_f32_e32 v24, 0xbf167918, v21
	v_add_f32_e32 v25, v25, v26
	v_fmac_f32_e32 v16, 0x3f167918, v21
	v_sub_f32_e32 v1, v13, v1
	v_mov_b32_e32 v13, v23
	v_fmac_f32_e32 v24, 0x3e9e377a, v25
	v_fmac_f32_e32 v16, 0x3e9e377a, v25
	;; [unrolled: 1-line block ×3, first 2 shown]
	v_sub_f32_e32 v5, v9, v5
	v_sub_f32_e32 v9, v14, v10
	;; [unrolled: 1-line block ×3, first 2 shown]
	v_fmac_f32_e32 v23, 0xbf737871, v1
	v_fmac_f32_e32 v13, 0x3f167918, v5
	v_add_f32_e32 v9, v9, v25
	v_fmac_f32_e32 v23, 0xbf167918, v5
	v_fmac_f32_e32 v13, 0x3e9e377a, v9
	;; [unrolled: 1-line block ×3, first 2 shown]
	v_add_f32_e32 v9, v14, v2
	v_add_f32_e32 v21, v17, v14
	v_fma_f32 v17, -0.5, v9, v17
	v_mov_b32_e32 v25, v17
	v_fmac_f32_e32 v25, 0xbf737871, v5
	v_fmac_f32_e32 v17, 0x3f737871, v5
	;; [unrolled: 1-line block ×4, first 2 shown]
	v_add_f32_e32 v1, v36, v15
	v_mul_f32_e32 v3, v50, v35
	v_add_f32_e32 v21, v21, v10
	v_add_f32_e32 v1, v1, v11
	v_fmac_f32_e32 v3, v49, v34
	v_add_f32_e32 v21, v21, v6
	v_add_f32_e32 v1, v1, v7
	v_mul_f32_e32 v18, v50, v34
	v_add_f32_e32 v21, v21, v2
	v_sub_f32_e32 v9, v10, v14
	v_sub_f32_e32 v2, v6, v2
	v_add_f32_e32 v10, v1, v3
	v_add_f32_e32 v1, v11, v7
	v_fma_f32 v18, v49, v35, -v18
	v_add_f32_e32 v2, v9, v2
	v_fma_f32 v9, -0.5, v1, v36
	v_sub_f32_e32 v1, v8, v18
	v_mov_b32_e32 v5, v9
	v_fmac_f32_e32 v25, 0x3e9e377a, v2
	v_fmac_f32_e32 v17, 0x3e9e377a, v2
	;; [unrolled: 1-line block ×3, first 2 shown]
	v_sub_f32_e32 v2, v4, v0
	v_sub_f32_e32 v6, v15, v11
	;; [unrolled: 1-line block ×3, first 2 shown]
	v_fmac_f32_e32 v9, 0x3f737871, v1
	v_fmac_f32_e32 v5, 0xbf167918, v2
	v_add_f32_e32 v6, v6, v14
	v_fmac_f32_e32 v9, 0x3f167918, v2
	v_fmac_f32_e32 v5, 0x3e9e377a, v6
	;; [unrolled: 1-line block ×3, first 2 shown]
	v_add_f32_e32 v6, v15, v3
	v_fmac_f32_e32 v36, -0.5, v6
	v_mov_b32_e32 v14, v36
	v_fmac_f32_e32 v14, 0x3f737871, v2
	v_fmac_f32_e32 v36, 0xbf737871, v2
	;; [unrolled: 1-line block ×4, first 2 shown]
	v_add_f32_e32 v1, v12, v8
	v_add_f32_e32 v1, v1, v4
	v_sub_f32_e32 v6, v11, v15
	v_sub_f32_e32 v26, v7, v3
	v_add_f32_e32 v1, v1, v0
	v_add_f32_e32 v6, v6, v26
	;; [unrolled: 1-line block ×4, first 2 shown]
	v_fma_f32 v27, -0.5, v1, v12
	v_sub_f32_e32 v1, v15, v3
	v_mov_b32_e32 v3, v27
	v_fmac_f32_e32 v14, 0x3e9e377a, v6
	v_fmac_f32_e32 v36, 0x3e9e377a, v6
	;; [unrolled: 1-line block ×3, first 2 shown]
	v_sub_f32_e32 v2, v11, v7
	v_sub_f32_e32 v6, v8, v4
	;; [unrolled: 1-line block ×3, first 2 shown]
	v_fmac_f32_e32 v27, 0xbf737871, v1
	v_fmac_f32_e32 v3, 0x3f167918, v2
	v_add_f32_e32 v6, v6, v7
	v_fmac_f32_e32 v27, 0xbf167918, v2
	v_fmac_f32_e32 v3, 0x3e9e377a, v6
	;; [unrolled: 1-line block ×3, first 2 shown]
	v_add_f32_e32 v6, v8, v18
	v_fmac_f32_e32 v12, -0.5, v6
	v_mov_b32_e32 v7, v12
	v_fmac_f32_e32 v7, 0xbf737871, v2
	v_sub_f32_e32 v4, v4, v8
	v_sub_f32_e32 v0, v0, v18
	v_fmac_f32_e32 v12, 0x3f737871, v2
	v_fmac_f32_e32 v7, 0x3f167918, v1
	v_add_f32_e32 v0, v4, v0
	v_fmac_f32_e32 v12, 0xbf167918, v1
	v_fmac_f32_e32 v7, 0x3e9e377a, v0
	;; [unrolled: 1-line block ×3, first 2 shown]
	v_mul_f32_e32 v11, 0xbf167918, v3
	v_mul_f32_e32 v29, 0x3f4f1bbd, v3
	v_fmac_f32_e32 v11, 0x3f4f1bbd, v5
	v_mul_f32_e32 v15, 0xbf737871, v7
	v_mul_f32_e32 v18, 0xbf737871, v12
	;; [unrolled: 1-line block ×3, first 2 shown]
	v_fmac_f32_e32 v29, 0x3f167918, v5
	v_mul_f32_e32 v30, 0x3e9e377a, v7
	v_mul_f32_e32 v31, 0xbe9e377a, v12
	v_mul_f32_e32 v27, 0xbf4f1bbd, v27
	v_add_f32_e32 v0, v19, v10
	v_add_f32_e32 v2, v22, v11
	v_fmac_f32_e32 v15, 0x3e9e377a, v14
	v_fmac_f32_e32 v18, 0xbe9e377a, v36
	;; [unrolled: 1-line block ×3, first 2 shown]
	v_add_f32_e32 v1, v21, v26
	v_add_f32_e32 v3, v13, v29
	v_fmac_f32_e32 v30, 0x3f737871, v14
	v_fmac_f32_e32 v31, 0x3f737871, v36
	;; [unrolled: 1-line block ×3, first 2 shown]
	v_add_f32_e32 v4, v24, v15
	v_add_f32_e32 v6, v16, v18
	;; [unrolled: 1-line block ×6, first 2 shown]
	v_sub_f32_e32 v10, v19, v10
	v_sub_f32_e32 v12, v22, v11
	;; [unrolled: 1-line block ×10, first 2 shown]
	ds_write2_b64 v57, v[0:1], v[2:3] offset1:16
	ds_write2_b64 v56, v[4:5], v[6:7] offset0:32 offset1:48
	ds_write2_b64 v56, v[8:9], v[10:11] offset0:64 offset1:80
	;; [unrolled: 1-line block ×4, first 2 shown]
	s_waitcnt lgkmcnt(0)
	s_barrier
	s_and_b64 exec, exec, vcc
	s_cbranch_execz .LBB0_15
; %bb.14:
	global_load_dwordx2 v[8:9], v53, s[6:7]
	global_load_dwordx2 v[10:11], v53, s[6:7] offset:80
	global_load_dwordx2 v[12:13], v53, s[6:7] offset:160
	;; [unrolled: 1-line block ×4, first 2 shown]
	ds_read2_b64 v[0:3], v56 offset0:10 offset1:20
	ds_read2_b64 v[4:7], v56 offset0:30 offset1:40
	global_load_dwordx2 v[22:23], v53, s[6:7] offset:400
	global_load_dwordx2 v[24:25], v53, s[6:7] offset:480
	;; [unrolled: 1-line block ×3, first 2 shown]
	v_mad_u64_u32 v[18:19], s[4:5], s2, v48, 0
	v_mad_u64_u32 v[20:21], s[10:11], s0, v54, 0
	v_mov_b32_e32 v35, s9
	s_mul_i32 s2, s1, 0x50
	v_mad_u64_u32 v[32:33], s[10:11], s3, v48, v[19:20]
	s_mul_hi_u32 s9, s0, 0x50
	s_mulk_i32 s0, 0x50
	v_mov_b32_e32 v19, v32
	v_lshlrev_b64 v[18:19], 3, v[18:19]
	ds_read_b64 v[28:29], v57
	ds_read_b64 v[30:31], v56 offset:1200
	v_add_co_u32_e32 v18, vcc, s8, v18
	v_addc_co_u32_e32 v19, vcc, v35, v19, vcc
	s_add_i32 s2, s9, s2
	v_mov_b32_e32 v36, s2
	s_mov_b32 s4, 0x9999999a
	s_mov_b32 s5, 0x3f799999
	v_mov_b32_e32 v38, s2
	s_waitcnt vmcnt(6) lgkmcnt(3)
	v_mul_f32_e32 v35, v1, v11
	v_mul_f32_e32 v11, v0, v11
	s_waitcnt vmcnt(4) lgkmcnt(2)
	v_mul_f32_e32 v37, v5, v15
	v_mul_f32_e32 v15, v4, v15
	s_waitcnt vmcnt(2)
	v_mad_u64_u32 v[33:34], s[10:11], s1, v54, v[21:22]
	v_mov_b32_e32 v34, s2
	v_fmac_f32_e32 v35, v0, v10
	v_mov_b32_e32 v21, v33
	v_lshlrev_b64 v[20:21], 3, v[20:21]
	v_fmac_f32_e32 v37, v4, v14
	v_add_co_u32_e32 v18, vcc, v18, v20
	v_addc_co_u32_e32 v19, vcc, v19, v21, vcc
	v_add_co_u32_e32 v20, vcc, s0, v18
	v_addc_co_u32_e32 v21, vcc, v19, v36, vcc
	;; [unrolled: 2-line block ×3, first 2 shown]
	s_waitcnt lgkmcnt(1)
	v_mul_f32_e32 v34, v29, v9
	v_mul_f32_e32 v9, v28, v9
	;; [unrolled: 1-line block ×4, first 2 shown]
	v_fmac_f32_e32 v34, v28, v8
	v_fma_f32 v8, v8, v29, -v9
	v_fma_f32 v9, v10, v1, -v11
	v_fmac_f32_e32 v36, v2, v12
	v_fma_f32 v12, v12, v3, -v13
	v_cvt_f64_f32_e32 v[0:1], v34
	v_cvt_f64_f32_e32 v[2:3], v8
	v_fma_f32 v28, v14, v5, -v15
	v_cvt_f64_f32_e32 v[4:5], v35
	v_cvt_f64_f32_e32 v[8:9], v9
	;; [unrolled: 1-line block ×4, first 2 shown]
	v_mul_f64 v[0:1], v[0:1], s[4:5]
	v_mul_f64 v[2:3], v[2:3], s[4:5]
	;; [unrolled: 1-line block ×6, first 2 shown]
	v_cvt_f64_f32_e32 v[14:15], v37
	global_load_dwordx2 v[36:37], v53, s[6:7] offset:640
	v_cvt_f32_f64_e32 v0, v[0:1]
	v_cvt_f32_f64_e32 v1, v[2:3]
	;; [unrolled: 1-line block ×6, first 2 shown]
	global_store_dwordx2 v[18:19], v[0:1], off
	global_store_dwordx2 v[20:21], v[2:3], off
	;; [unrolled: 1-line block ×3, first 2 shown]
	v_cvt_f64_f32_e32 v[28:29], v28
	global_load_dwordx2 v[4:5], v53, s[6:7] offset:720
	v_mul_f32_e32 v39, v7, v17
	v_mul_f64 v[14:15], v[14:15], s[4:5]
	v_mul_f64 v[28:29], v[28:29], s[4:5]
	v_fmac_f32_e32 v39, v6, v16
	v_cvt_f64_f32_e32 v[34:35], v39
	v_mul_f32_e32 v0, v6, v17
	v_fma_f32 v0, v16, v7, -v0
	v_cvt_f64_f32_e32 v[6:7], v0
	v_mul_f64 v[10:11], v[34:35], s[4:5]
	ds_read2_b64 v[0:3], v56 offset0:50 offset1:60
	v_cvt_f32_f64_e32 v8, v[14:15]
	global_load_dwordx2 v[14:15], v53, s[6:7] offset:800
	v_cvt_f32_f64_e32 v9, v[28:29]
	v_mul_f64 v[6:7], v[6:7], s[4:5]
	v_add_co_u32_e32 v12, vcc, s0, v32
	v_addc_co_u32_e32 v13, vcc, v33, v38, vcc
	global_store_dwordx2 v[12:13], v[8:9], off
	s_waitcnt lgkmcnt(0)
	v_mul_f32_e32 v9, v1, v23
	v_fmac_f32_e32 v9, v0, v22
	v_cvt_f32_f64_e32 v8, v[10:11]
	v_cvt_f64_f32_e32 v[10:11], v9
	v_cvt_f32_f64_e32 v9, v[6:7]
	v_mul_f32_e32 v0, v0, v23
	v_fma_f32 v0, v22, v1, -v0
	v_mul_f64 v[6:7], v[10:11], s[4:5]
	v_mov_b32_e32 v11, s2
	v_add_co_u32_e32 v10, vcc, s0, v12
	v_addc_co_u32_e32 v11, vcc, v13, v11, vcc
	global_store_dwordx2 v[10:11], v[8:9], off
	global_load_dwordx2 v[8:9], v53, s[6:7] offset:880
	v_cvt_f64_f32_e32 v[0:1], v0
	v_cvt_f32_f64_e32 v6, v[6:7]
	v_mov_b32_e32 v18, s2
	v_add_co_u32_e32 v10, vcc, s0, v10
	v_mul_f64 v[0:1], v[0:1], s[4:5]
	v_addc_co_u32_e32 v11, vcc, v11, v18, vcc
	v_cvt_f32_f64_e32 v7, v[0:1]
	s_waitcnt vmcnt(10)
	v_mul_f32_e32 v0, v3, v25
	v_fmac_f32_e32 v0, v2, v24
	v_cvt_f64_f32_e32 v[12:13], v0
	v_mul_f32_e32 v0, v2, v25
	v_fma_f32 v0, v24, v3, -v0
	v_cvt_f64_f32_e32 v[16:17], v0
	ds_read2_b64 v[0:3], v56 offset0:70 offset1:80
	global_store_dwordx2 v[10:11], v[6:7], off
	v_mul_f64 v[6:7], v[12:13], s[4:5]
	v_mul_f64 v[12:13], v[16:17], s[4:5]
	v_add_co_u32_e32 v10, vcc, s0, v10
	s_waitcnt vmcnt(10) lgkmcnt(0)
	v_mul_f32_e32 v16, v1, v27
	v_fmac_f32_e32 v16, v0, v26
	v_mul_f32_e32 v0, v0, v27
	v_fma_f32 v0, v26, v1, -v0
	v_cvt_f64_f32_e32 v[0:1], v0
	v_cvt_f64_f32_e32 v[16:17], v16
	v_cvt_f32_f64_e32 v6, v[6:7]
	v_cvt_f32_f64_e32 v7, v[12:13]
	v_mul_f64 v[0:1], v[0:1], s[4:5]
	v_mul_f64 v[12:13], v[16:17], s[4:5]
	v_mov_b32_e32 v16, s2
	v_addc_co_u32_e32 v11, vcc, v11, v16, vcc
	global_store_dwordx2 v[10:11], v[6:7], off
	v_add_co_u32_e32 v10, vcc, s0, v10
	v_cvt_f32_f64_e32 v7, v[0:1]
	s_waitcnt vmcnt(10)
	v_mul_f32_e32 v0, v3, v37
	v_fmac_f32_e32 v0, v2, v36
	v_cvt_f32_f64_e32 v6, v[12:13]
	v_cvt_f64_f32_e32 v[12:13], v0
	v_mul_f32_e32 v0, v2, v37
	v_fma_f32 v0, v36, v3, -v0
	v_cvt_f64_f32_e32 v[16:17], v0
	ds_read2_b64 v[0:3], v56 offset0:90 offset1:100
	v_addc_co_u32_e32 v11, vcc, v11, v18, vcc
	global_store_dwordx2 v[10:11], v[6:7], off
	v_mul_f64 v[6:7], v[12:13], s[4:5]
	v_mul_f64 v[12:13], v[16:17], s[4:5]
	s_waitcnt vmcnt(7) lgkmcnt(0)
	v_mul_f32_e32 v16, v1, v5
	v_fmac_f32_e32 v16, v0, v4
	v_mul_f32_e32 v0, v0, v5
	v_fma_f32 v0, v4, v1, -v0
	v_cvt_f64_f32_e32 v[0:1], v0
	v_cvt_f64_f32_e32 v[16:17], v16
	v_cvt_f32_f64_e32 v4, v[6:7]
	v_cvt_f32_f64_e32 v5, v[12:13]
	v_mul_f64 v[0:1], v[0:1], s[4:5]
	v_mul_f64 v[6:7], v[16:17], s[4:5]
	v_mov_b32_e32 v12, s2
	v_add_co_u32_e32 v10, vcc, s0, v10
	v_addc_co_u32_e32 v11, vcc, v11, v12, vcc
	global_store_dwordx2 v[10:11], v[4:5], off
	v_cvt_f32_f64_e32 v5, v[0:1]
	s_waitcnt vmcnt(7)
	v_mul_f32_e32 v0, v3, v15
	v_fmac_f32_e32 v0, v2, v14
	v_cvt_f32_f64_e32 v4, v[6:7]
	v_cvt_f64_f32_e32 v[6:7], v0
	v_mul_f32_e32 v0, v2, v15
	v_fma_f32 v0, v14, v3, -v0
	v_cvt_f64_f32_e32 v[12:13], v0
	ds_read2_b64 v[0:3], v56 offset0:110 offset1:120
	v_mov_b32_e32 v16, s2
	v_add_co_u32_e32 v10, vcc, s0, v10
	v_addc_co_u32_e32 v11, vcc, v11, v16, vcc
	global_store_dwordx2 v[10:11], v[4:5], off
	v_mul_f64 v[4:5], v[6:7], s[4:5]
	v_mul_f64 v[6:7], v[12:13], s[4:5]
	s_waitcnt vmcnt(5) lgkmcnt(0)
	v_mul_f32_e32 v12, v1, v9
	v_fmac_f32_e32 v12, v0, v8
	v_mul_f32_e32 v0, v0, v9
	v_fma_f32 v0, v8, v1, -v0
	v_cvt_f64_f32_e32 v[12:13], v12
	v_cvt_f64_f32_e32 v[0:1], v0
	v_cvt_f32_f64_e32 v4, v[4:5]
	v_cvt_f32_f64_e32 v5, v[6:7]
	v_mul_f64 v[6:7], v[12:13], s[4:5]
	v_mul_f64 v[0:1], v[0:1], s[4:5]
	v_mov_b32_e32 v9, s2
	v_add_co_u32_e32 v8, vcc, s0, v10
	v_addc_co_u32_e32 v9, vcc, v11, v9, vcc
	global_store_dwordx2 v[8:9], v[4:5], off
	v_cvt_f32_f64_e32 v4, v[6:7]
	v_cvt_f32_f64_e32 v5, v[0:1]
	v_mov_b32_e32 v1, s2
	v_add_co_u32_e32 v0, vcc, s0, v8
	v_addc_co_u32_e32 v1, vcc, v9, v1, vcc
	global_store_dwordx2 v[0:1], v[4:5], off
	global_load_dwordx2 v[4:5], v53, s[6:7] offset:960
	s_waitcnt vmcnt(0)
	v_mul_f32_e32 v6, v3, v5
	v_fmac_f32_e32 v6, v2, v4
	v_mul_f32_e32 v2, v2, v5
	v_fma_f32 v2, v4, v3, -v2
	v_cvt_f64_f32_e32 v[6:7], v6
	v_cvt_f64_f32_e32 v[2:3], v2
	v_mul_f64 v[4:5], v[6:7], s[4:5]
	v_mul_f64 v[2:3], v[2:3], s[4:5]
	v_add_co_u32_e32 v6, vcc, s0, v0
	v_cvt_f32_f64_e32 v4, v[4:5]
	v_cvt_f32_f64_e32 v5, v[2:3]
	v_mov_b32_e32 v2, s2
	v_addc_co_u32_e32 v7, vcc, v1, v2, vcc
	global_store_dwordx2 v[6:7], v[4:5], off
	global_load_dwordx2 v[4:5], v53, s[6:7] offset:1040
	ds_read2_b64 v[0:3], v56 offset0:130 offset1:140
	s_waitcnt vmcnt(0) lgkmcnt(0)
	v_mul_f32_e32 v8, v1, v5
	v_mul_f32_e32 v5, v0, v5
	v_fmac_f32_e32 v8, v0, v4
	v_fma_f32 v4, v4, v1, -v5
	v_cvt_f64_f32_e32 v[0:1], v8
	v_cvt_f64_f32_e32 v[4:5], v4
	v_mov_b32_e32 v8, s2
	v_mul_f64 v[0:1], v[0:1], s[4:5]
	v_mul_f64 v[4:5], v[4:5], s[4:5]
	v_cvt_f32_f64_e32 v0, v[0:1]
	v_cvt_f32_f64_e32 v1, v[4:5]
	v_add_co_u32_e32 v4, vcc, s0, v6
	v_addc_co_u32_e32 v5, vcc, v7, v8, vcc
	global_store_dwordx2 v[4:5], v[0:1], off
	global_load_dwordx2 v[0:1], v53, s[6:7] offset:1120
	s_waitcnt vmcnt(0)
	v_mul_f32_e32 v6, v3, v1
	v_mul_f32_e32 v1, v2, v1
	v_fmac_f32_e32 v6, v2, v0
	v_fma_f32 v2, v0, v3, -v1
	v_cvt_f64_f32_e32 v[0:1], v6
	v_cvt_f64_f32_e32 v[2:3], v2
	v_mov_b32_e32 v6, s2
	v_mul_f64 v[0:1], v[0:1], s[4:5]
	v_mul_f64 v[2:3], v[2:3], s[4:5]
	v_cvt_f32_f64_e32 v0, v[0:1]
	v_cvt_f32_f64_e32 v1, v[2:3]
	v_add_co_u32_e32 v2, vcc, s0, v4
	v_addc_co_u32_e32 v3, vcc, v5, v6, vcc
	global_store_dwordx2 v[2:3], v[0:1], off
	global_load_dwordx2 v[0:1], v53, s[6:7] offset:1200
	v_add_co_u32_e32 v2, vcc, s0, v2
	v_addc_co_u32_e32 v3, vcc, v3, v6, vcc
	s_waitcnt vmcnt(0)
	v_mul_f32_e32 v4, v31, v1
	v_mul_f32_e32 v1, v30, v1
	v_fmac_f32_e32 v4, v30, v0
	v_fma_f32 v5, v0, v31, -v1
	v_cvt_f64_f32_e32 v[0:1], v4
	v_cvt_f64_f32_e32 v[4:5], v5
	v_mul_f64 v[0:1], v[0:1], s[4:5]
	v_mul_f64 v[4:5], v[4:5], s[4:5]
	v_cvt_f32_f64_e32 v0, v[0:1]
	v_cvt_f32_f64_e32 v1, v[4:5]
	global_store_dwordx2 v[2:3], v[0:1], off
.LBB0_15:
	s_endpgm
	.section	.rodata,"a",@progbits
	.p2align	6, 0x0
	.amdhsa_kernel bluestein_single_back_len160_dim1_sp_op_CI_CI
		.amdhsa_group_segment_fixed_size 20480
		.amdhsa_private_segment_fixed_size 0
		.amdhsa_kernarg_size 104
		.amdhsa_user_sgpr_count 6
		.amdhsa_user_sgpr_private_segment_buffer 1
		.amdhsa_user_sgpr_dispatch_ptr 0
		.amdhsa_user_sgpr_queue_ptr 0
		.amdhsa_user_sgpr_kernarg_segment_ptr 1
		.amdhsa_user_sgpr_dispatch_id 0
		.amdhsa_user_sgpr_flat_scratch_init 0
		.amdhsa_user_sgpr_private_segment_size 0
		.amdhsa_uses_dynamic_stack 0
		.amdhsa_system_sgpr_private_segment_wavefront_offset 0
		.amdhsa_system_sgpr_workgroup_id_x 1
		.amdhsa_system_sgpr_workgroup_id_y 0
		.amdhsa_system_sgpr_workgroup_id_z 0
		.amdhsa_system_sgpr_workgroup_info 0
		.amdhsa_system_vgpr_workitem_id 0
		.amdhsa_next_free_vgpr 81
		.amdhsa_next_free_sgpr 16
		.amdhsa_reserve_vcc 1
		.amdhsa_reserve_flat_scratch 0
		.amdhsa_float_round_mode_32 0
		.amdhsa_float_round_mode_16_64 0
		.amdhsa_float_denorm_mode_32 3
		.amdhsa_float_denorm_mode_16_64 3
		.amdhsa_dx10_clamp 1
		.amdhsa_ieee_mode 1
		.amdhsa_fp16_overflow 0
		.amdhsa_exception_fp_ieee_invalid_op 0
		.amdhsa_exception_fp_denorm_src 0
		.amdhsa_exception_fp_ieee_div_zero 0
		.amdhsa_exception_fp_ieee_overflow 0
		.amdhsa_exception_fp_ieee_underflow 0
		.amdhsa_exception_fp_ieee_inexact 0
		.amdhsa_exception_int_div_zero 0
	.end_amdhsa_kernel
	.text
.Lfunc_end0:
	.size	bluestein_single_back_len160_dim1_sp_op_CI_CI, .Lfunc_end0-bluestein_single_back_len160_dim1_sp_op_CI_CI
                                        ; -- End function
	.section	.AMDGPU.csdata,"",@progbits
; Kernel info:
; codeLenInByte = 8600
; NumSgprs: 20
; NumVgprs: 81
; ScratchSize: 0
; MemoryBound: 0
; FloatMode: 240
; IeeeMode: 1
; LDSByteSize: 20480 bytes/workgroup (compile time only)
; SGPRBlocks: 2
; VGPRBlocks: 20
; NumSGPRsForWavesPerEU: 20
; NumVGPRsForWavesPerEU: 81
; Occupancy: 3
; WaveLimiterHint : 1
; COMPUTE_PGM_RSRC2:SCRATCH_EN: 0
; COMPUTE_PGM_RSRC2:USER_SGPR: 6
; COMPUTE_PGM_RSRC2:TRAP_HANDLER: 0
; COMPUTE_PGM_RSRC2:TGID_X_EN: 1
; COMPUTE_PGM_RSRC2:TGID_Y_EN: 0
; COMPUTE_PGM_RSRC2:TGID_Z_EN: 0
; COMPUTE_PGM_RSRC2:TIDIG_COMP_CNT: 0
	.type	__hip_cuid_2ca92608fd12cc08,@object ; @__hip_cuid_2ca92608fd12cc08
	.section	.bss,"aw",@nobits
	.globl	__hip_cuid_2ca92608fd12cc08
__hip_cuid_2ca92608fd12cc08:
	.byte	0                               ; 0x0
	.size	__hip_cuid_2ca92608fd12cc08, 1

	.ident	"AMD clang version 19.0.0git (https://github.com/RadeonOpenCompute/llvm-project roc-6.4.0 25133 c7fe45cf4b819c5991fe208aaa96edf142730f1d)"
	.section	".note.GNU-stack","",@progbits
	.addrsig
	.addrsig_sym __hip_cuid_2ca92608fd12cc08
	.amdgpu_metadata
---
amdhsa.kernels:
  - .args:
      - .actual_access:  read_only
        .address_space:  global
        .offset:         0
        .size:           8
        .value_kind:     global_buffer
      - .actual_access:  read_only
        .address_space:  global
        .offset:         8
        .size:           8
        .value_kind:     global_buffer
      - .actual_access:  read_only
        .address_space:  global
        .offset:         16
        .size:           8
        .value_kind:     global_buffer
      - .actual_access:  read_only
        .address_space:  global
        .offset:         24
        .size:           8
        .value_kind:     global_buffer
      - .actual_access:  read_only
        .address_space:  global
        .offset:         32
        .size:           8
        .value_kind:     global_buffer
      - .offset:         40
        .size:           8
        .value_kind:     by_value
      - .address_space:  global
        .offset:         48
        .size:           8
        .value_kind:     global_buffer
      - .address_space:  global
        .offset:         56
        .size:           8
        .value_kind:     global_buffer
      - .address_space:  global
        .offset:         64
        .size:           8
        .value_kind:     global_buffer
      - .address_space:  global
        .offset:         72
        .size:           8
        .value_kind:     global_buffer
      - .offset:         80
        .size:           4
        .value_kind:     by_value
      - .address_space:  global
        .offset:         88
        .size:           8
        .value_kind:     global_buffer
      - .address_space:  global
        .offset:         96
        .size:           8
        .value_kind:     global_buffer
    .group_segment_fixed_size: 20480
    .kernarg_segment_align: 8
    .kernarg_segment_size: 104
    .language:       OpenCL C
    .language_version:
      - 2
      - 0
    .max_flat_workgroup_size: 256
    .name:           bluestein_single_back_len160_dim1_sp_op_CI_CI
    .private_segment_fixed_size: 0
    .sgpr_count:     20
    .sgpr_spill_count: 0
    .symbol:         bluestein_single_back_len160_dim1_sp_op_CI_CI.kd
    .uniform_work_group_size: 1
    .uses_dynamic_stack: false
    .vgpr_count:     81
    .vgpr_spill_count: 0
    .wavefront_size: 64
amdhsa.target:   amdgcn-amd-amdhsa--gfx906
amdhsa.version:
  - 1
  - 2
...

	.end_amdgpu_metadata
